;; amdgpu-corpus repo=ROCm/rocFFT kind=compiled arch=gfx906 opt=O3
	.text
	.amdgcn_target "amdgcn-amd-amdhsa--gfx906"
	.amdhsa_code_object_version 6
	.protected	fft_rtc_back_len56_factors_4_7_2_wgs_128_tpt_8_dim3_dp_op_CI_CI_sbrr_dirReg ; -- Begin function fft_rtc_back_len56_factors_4_7_2_wgs_128_tpt_8_dim3_dp_op_CI_CI_sbrr_dirReg
	.globl	fft_rtc_back_len56_factors_4_7_2_wgs_128_tpt_8_dim3_dp_op_CI_CI_sbrr_dirReg
	.p2align	8
	.type	fft_rtc_back_len56_factors_4_7_2_wgs_128_tpt_8_dim3_dp_op_CI_CI_sbrr_dirReg,@function
fft_rtc_back_len56_factors_4_7_2_wgs_128_tpt_8_dim3_dp_op_CI_CI_sbrr_dirReg: ; @fft_rtc_back_len56_factors_4_7_2_wgs_128_tpt_8_dim3_dp_op_CI_CI_sbrr_dirReg
; %bb.0:
	s_load_dwordx2 s[8:9], s[4:5], 0x8
	v_lshrrev_b32_e32 v35, 3, v0
	v_lshl_or_b32 v1, s6, 4, v35
	v_mov_b32_e32 v2, 0
	v_mov_b32_e32 v33, 0
	s_waitcnt lgkmcnt(0)
	s_load_dwordx2 s[0:1], s[8:9], 0x8
	v_mov_b32_e32 v34, 0
	v_mov_b32_e32 v3, v33
	v_mov_b32_e32 v4, v34
	s_waitcnt lgkmcnt(0)
	v_cmp_le_u64_e32 vcc, s[0:1], v[1:2]
	s_and_saveexec_b64 s[2:3], vcc
	s_cbranch_execz .LBB0_2
; %bb.1:
	v_cvt_f32_u32_e32 v3, s0
	s_sub_i32 s6, 0, s0
	v_rcp_iflag_f32_e32 v3, v3
	v_mul_f32_e32 v3, 0x4f7ffffe, v3
	v_cvt_u32_f32_e32 v3, v3
	v_mul_lo_u32 v4, s6, v3
	v_mul_hi_u32 v4, v3, v4
	v_add_u32_e32 v3, v3, v4
	v_mul_hi_u32 v3, v1, v3
	v_mul_lo_u32 v4, v3, s0
	v_add_u32_e32 v5, 1, v3
	v_sub_u32_e32 v4, v1, v4
	v_subrev_u32_e32 v6, s0, v4
	v_cmp_le_u32_e32 vcc, s0, v4
	v_cndmask_b32_e32 v4, v4, v6, vcc
	v_cndmask_b32_e32 v3, v3, v5, vcc
	v_add_u32_e32 v5, 1, v3
	v_cmp_le_u32_e32 vcc, s0, v4
	v_cndmask_b32_e32 v3, v3, v5, vcc
	v_mov_b32_e32 v4, v2
.LBB0_2:
	s_or_b64 exec, exec, s[2:3]
	s_load_dwordx2 s[2:3], s[8:9], 0x10
	s_load_dwordx2 s[16:17], s[4:5], 0x18
	s_waitcnt lgkmcnt(0)
	v_cmp_le_u64_e32 vcc, s[2:3], v[3:4]
	s_and_saveexec_b64 s[6:7], vcc
	s_cbranch_execz .LBB0_4
; %bb.3:
	v_cvt_f32_u32_e32 v2, s2
	s_sub_i32 s8, 0, s2
	v_mov_b32_e32 v34, 0
	v_rcp_iflag_f32_e32 v2, v2
	v_mul_f32_e32 v2, 0x4f7ffffe, v2
	v_cvt_u32_f32_e32 v2, v2
	v_mul_lo_u32 v5, s8, v2
	v_mul_hi_u32 v5, v2, v5
	v_add_u32_e32 v2, v2, v5
	v_mul_hi_u32 v2, v3, v2
	v_mul_lo_u32 v5, v2, s2
	v_add_u32_e32 v6, 1, v2
	v_sub_u32_e32 v5, v3, v5
	v_subrev_u32_e32 v7, s2, v5
	v_cmp_le_u32_e32 vcc, s2, v5
	v_cndmask_b32_e32 v5, v5, v7, vcc
	v_cndmask_b32_e32 v2, v2, v6, vcc
	v_add_u32_e32 v6, 1, v2
	v_cmp_le_u32_e32 vcc, s2, v5
	v_cndmask_b32_e32 v33, v2, v6, vcc
.LBB0_4:
	s_or_b64 exec, exec, s[6:7]
	v_mad_u64_u32 v[5:6], s[6:7], v3, s0, 0
	v_mad_u64_u32 v[7:8], s[6:7], v33, s2, 0
	v_mov_b32_e32 v2, v6
	v_mad_u64_u32 v[9:10], s[0:1], v3, s1, v[2:3]
	v_mov_b32_e32 v2, v8
	v_sub_co_u32_e32 v39, vcc, v1, v5
	v_mov_b32_e32 v6, v9
	v_mad_u64_u32 v[8:9], s[0:1], v33, s3, v[2:3]
	s_load_dwordx2 s[0:1], s[4:5], 0x20
	v_subb_co_u32_e32 v40, vcc, 0, v6, vcc
	v_mov_b32_e32 v1, v8
	v_sub_co_u32_e32 v41, vcc, v3, v7
	v_subb_co_u32_e32 v42, vcc, v4, v1, vcc
	s_waitcnt lgkmcnt(0)
	v_cmp_gt_u64_e32 vcc, s[0:1], v[33:34]
	v_cmp_le_u64_e64 s[0:1], s[0:1], v[33:34]
	v_and_b32_e32 v38, 7, v0
                                        ; implicit-def: $vgpr34
                                        ; implicit-def: $vgpr36
	s_and_saveexec_b64 s[2:3], s[0:1]
	s_xor_b64 s[0:1], exec, s[2:3]
; %bb.5:
	v_and_b32_e32 v34, 7, v0
	v_or_b32_e32 v36, 8, v34
                                        ; implicit-def: $vgpr38
; %bb.6:
	s_or_saveexec_b64 s[6:7], s[0:1]
	s_load_dwordx2 s[2:3], s[4:5], 0x0
	s_load_dwordx8 s[8:15], s[16:17], 0x0
                                        ; implicit-def: $vgpr3_vgpr4
                                        ; implicit-def: $vgpr19_vgpr20
                                        ; implicit-def: $vgpr15_vgpr16
                                        ; implicit-def: $vgpr31_vgpr32
                                        ; implicit-def: $vgpr27_vgpr28
                                        ; implicit-def: $vgpr11_vgpr12
                                        ; implicit-def: $vgpr23_vgpr24
                                        ; implicit-def: $vgpr7_vgpr8
	s_xor_b64 exec, exec, s[6:7]
	s_cbranch_execz .LBB0_10
; %bb.7:
	s_load_dwordx2 s[0:1], s[4:5], 0x10
	s_load_dwordx2 s[18:19], s[4:5], 0x50
	v_add_u32_e32 v18, 42, v38
	v_or_b32_e32 v36, 8, v38
                                        ; implicit-def: $vgpr25_vgpr26
                                        ; implicit-def: $vgpr29_vgpr30
	s_waitcnt lgkmcnt(0)
	s_load_dwordx2 s[24:25], s[0:1], 0x18
	s_load_dwordx4 s[20:23], s[0:1], 0x8
	s_load_dwordx2 s[16:17], s[0:1], 0x0
	s_waitcnt lgkmcnt(0)
	v_mad_u64_u32 v[1:2], s[0:1], s24, v33, 0
	v_mad_u64_u32 v[3:4], s[0:1], s22, v41, 0
	v_mul_lo_u32 v12, s23, v41
	v_mul_lo_u32 v13, s22, v42
	v_mad_u64_u32 v[5:6], s[0:1], s25, v33, v[2:3]
	v_mad_u64_u32 v[6:7], s[0:1], s16, v38, 0
	v_mul_lo_u32 v14, s21, v39
	v_mul_lo_u32 v15, s20, v40
	v_mov_b32_e32 v2, v7
	v_mad_u64_u32 v[10:11], s[0:1], s17, v38, v[2:3]
	v_mov_b32_e32 v2, v5
	v_lshlrev_b64 v[1:2], 4, v[1:2]
	v_mad_u64_u32 v[8:9], s[0:1], s20, v39, 0
	v_add3_u32 v4, v4, v13, v12
	v_mov_b32_e32 v7, v10
	v_mov_b32_e32 v5, s19
	v_add_co_u32_e64 v10, s[0:1], s18, v1
	v_addc_co_u32_e64 v5, s[0:1], v5, v2, s[0:1]
	v_lshlrev_b64 v[1:2], 4, v[3:4]
	v_add3_u32 v9, v9, v15, v14
	v_add_co_u32_e64 v10, s[0:1], v10, v1
	v_addc_co_u32_e64 v5, s[0:1], v5, v2, s[0:1]
	v_lshlrev_b64 v[1:2], 4, v[8:9]
	v_add_u32_e32 v8, 14, v38
	v_mad_u64_u32 v[3:4], s[0:1], s16, v8, 0
	v_add_co_u32_e64 v27, s[0:1], v10, v1
	v_addc_co_u32_e64 v28, s[0:1], v5, v2, s[0:1]
	v_mad_u64_u32 v[4:5], s[0:1], s17, v8, v[4:5]
	v_lshlrev_b64 v[1:2], 4, v[6:7]
	v_add_co_u32_e64 v9, s[0:1], v27, v1
	v_addc_co_u32_e64 v10, s[0:1], v28, v2, s[0:1]
	v_lshlrev_b64 v[1:2], 4, v[3:4]
	v_add_u32_e32 v3, 28, v38
	v_mad_u64_u32 v[11:12], s[0:1], s16, v3, 0
	v_add_co_u32_e64 v13, s[0:1], v27, v1
	v_mov_b32_e32 v1, v12
	v_addc_co_u32_e64 v14, s[0:1], v28, v2, s[0:1]
	v_mad_u64_u32 v[15:16], s[0:1], s17, v3, v[1:2]
	v_mad_u64_u32 v[16:17], s[0:1], s16, v18, 0
	v_mov_b32_e32 v12, v15
	global_load_dwordx4 v[5:8], v[9:10], off
	global_load_dwordx4 v[1:4], v[13:14], off
	v_lshlrev_b64 v[9:10], 4, v[11:12]
	v_mov_b32_e32 v11, v17
	v_mad_u64_u32 v[11:12], s[0:1], s17, v18, v[11:12]
	v_add_co_u32_e64 v9, s[0:1], v27, v9
	v_mov_b32_e32 v17, v11
	v_lshlrev_b64 v[11:12], 4, v[16:17]
	v_addc_co_u32_e64 v10, s[0:1], v28, v10, s[0:1]
	v_add_co_u32_e64 v11, s[0:1], v27, v11
	v_addc_co_u32_e64 v12, s[0:1], v28, v12, s[0:1]
	global_load_dwordx4 v[17:20], v[9:10], off
	global_load_dwordx4 v[21:24], v[11:12], off
	v_cmp_gt_u32_e64 s[0:1], 14, v36
                                        ; implicit-def: $vgpr9_vgpr10
                                        ; implicit-def: $vgpr13_vgpr14
	s_and_saveexec_b64 s[18:19], s[0:1]
	s_cbranch_execz .LBB0_9
; %bb.8:
	v_add_u32_e32 v15, 22, v38
	v_mad_u64_u32 v[9:10], s[0:1], s16, v36, 0
	v_mad_u64_u32 v[11:12], s[0:1], s16, v15, 0
	v_add_u32_e32 v34, 50, v38
	v_mad_u64_u32 v[13:14], s[0:1], s17, v36, v[10:11]
	v_mov_b32_e32 v10, v13
	v_mad_u64_u32 v[12:13], s[0:1], s17, v15, v[12:13]
	v_lshlrev_b64 v[9:10], 4, v[9:10]
	v_add_co_u32_e64 v25, s[0:1], v27, v9
	v_addc_co_u32_e64 v26, s[0:1], v28, v10, s[0:1]
	v_lshlrev_b64 v[9:10], 4, v[11:12]
	v_add_u32_e32 v11, 36, v38
	v_mad_u64_u32 v[29:30], s[0:1], s16, v11, 0
	v_add_co_u32_e64 v31, s[0:1], v27, v9
	v_mov_b32_e32 v9, v30
	v_addc_co_u32_e64 v32, s[0:1], v28, v10, s[0:1]
	v_mad_u64_u32 v[43:44], s[0:1], s17, v11, v[9:10]
	v_mad_u64_u32 v[44:45], s[0:1], s16, v34, 0
	v_mov_b32_e32 v30, v43
	global_load_dwordx4 v[9:12], v[25:26], off
	global_load_dwordx4 v[13:16], v[31:32], off
	v_lshlrev_b64 v[25:26], 4, v[29:30]
	v_mov_b32_e32 v29, v45
	v_mad_u64_u32 v[29:30], s[0:1], s17, v34, v[29:30]
	v_add_co_u32_e64 v46, s[0:1], v27, v25
	v_mov_b32_e32 v45, v29
	v_addc_co_u32_e64 v47, s[0:1], v28, v26, s[0:1]
	v_lshlrev_b64 v[25:26], 4, v[44:45]
	v_add_co_u32_e64 v43, s[0:1], v27, v25
	v_addc_co_u32_e64 v44, s[0:1], v28, v26, s[0:1]
	global_load_dwordx4 v[29:32], v[46:47], off
	global_load_dwordx4 v[25:28], v[43:44], off
.LBB0_9:
	s_or_b64 exec, exec, s[18:19]
	v_mov_b32_e32 v34, v38
.LBB0_10:
	s_or_b64 exec, exec, s[6:7]
	s_waitcnt vmcnt(1)
	v_add_f64 v[47:48], v[5:6], -v[17:18]
	v_add_f64 v[49:50], v[7:8], -v[19:20]
	s_waitcnt vmcnt(0)
	v_add_f64 v[17:18], v[1:2], -v[21:22]
	v_add_f64 v[19:20], v[3:4], -v[23:24]
	v_lshl_add_u32 v21, v34, 6, 0
	v_cmp_gt_u32_e64 s[0:1], 6, v34
	v_fma_f64 v[51:52], v[5:6], 2.0, -v[47:48]
	v_fma_f64 v[53:54], v[7:8], 2.0, -v[49:50]
	;; [unrolled: 1-line block ×4, first 2 shown]
	v_add_f64 v[5:6], v[9:10], -v[29:30]
	v_add_f64 v[7:8], v[11:12], -v[31:32]
	v_add_f64 v[29:30], v[19:20], v[47:48]
	v_add_f64 v[31:32], v[49:50], -v[17:18]
	v_add_f64 v[19:20], v[15:16], -v[27:28]
	;; [unrolled: 1-line block ×5, first 2 shown]
	v_mul_u32_u24_e32 v26, 56, v35
	v_lshl_add_u32 v27, v26, 4, v21
	v_fma_f64 v[22:23], v[47:48], 2.0, -v[29:30]
	v_fma_f64 v[24:25], v[49:50], 2.0, -v[31:32]
	v_add_f64 v[1:2], v[19:20], v[5:6]
	v_add_f64 v[3:4], v[7:8], -v[17:18]
	v_fma_f64 v[47:48], v[51:52], 2.0, -v[43:44]
	v_fma_f64 v[49:50], v[53:54], 2.0, -v[45:46]
	ds_write_b128 v27, v[29:32] offset:48
	ds_write_b128 v27, v[22:25] offset:16
	;; [unrolled: 1-line block ×3, first 2 shown]
	ds_write_b128 v27, v[47:50]
	v_lshlrev_b32_e32 v22, 4, v26
	s_and_saveexec_b64 s[6:7], s[0:1]
	s_cbranch_execz .LBB0_12
; %bb.11:
	v_fma_f64 v[23:24], v[11:12], 2.0, -v[7:8]
	v_fma_f64 v[11:12], v[15:16], 2.0, -v[19:20]
	;; [unrolled: 1-line block ×6, first 2 shown]
	v_lshlrev_b32_e32 v17, 6, v36
	v_add3_u32 v17, 0, v17, v22
	v_add_f64 v[11:12], v[23:24], -v[11:12]
	v_add_f64 v[9:10], v[19:20], -v[9:10]
	v_fma_f64 v[15:16], v[23:24], 2.0, -v[11:12]
	v_fma_f64 v[13:14], v[19:20], 2.0, -v[9:10]
	ds_write_b128 v17, v[5:8] offset:16
	ds_write_b128 v17, v[9:12] offset:32
	ds_write_b128 v17, v[13:16]
	ds_write_b128 v17, v[1:4] offset:48
.LBB0_12:
	s_or_b64 exec, exec, s[6:7]
	v_and_b32_e32 v35, 3, v0
	v_mul_u32_u24_e32 v0, 6, v35
	v_lshlrev_b32_e32 v0, 4, v0
	s_waitcnt lgkmcnt(0)
	s_barrier
	global_load_dwordx4 v[5:8], v0, s[2:3]
	global_load_dwordx4 v[9:12], v0, s[2:3] offset:16
	global_load_dwordx4 v[15:18], v0, s[2:3] offset:32
	global_load_dwordx4 v[23:26], v0, s[2:3] offset:64
	global_load_dwordx4 v[27:30], v0, s[2:3] offset:80
	global_load_dwordx4 v[43:46], v0, s[2:3] offset:48
	v_add_u32_e32 v14, 0, v22
	v_lshl_add_u32 v13, v36, 4, v14
	ds_read_b128 v[47:50], v13
	v_mul_i32_i24_e32 v0, 0xffffffd0, v34
	v_add3_u32 v0, v21, v0, v22
	ds_read_b128 v[19:22], v0 offset:256
	s_mov_b32 s6, 0x36b3c0b5
	s_mov_b32 s0, 0x37e14327
	;; [unrolled: 1-line block ×6, first 2 shown]
	s_waitcnt vmcnt(5) lgkmcnt(1)
	v_mul_f64 v[31:32], v[49:50], v[7:8]
	v_mul_f64 v[7:8], v[47:48], v[7:8]
	v_fma_f64 v[31:32], v[47:48], v[5:6], v[31:32]
	v_fma_f64 v[47:48], v[49:50], v[5:6], -v[7:8]
	ds_read_b128 v[5:8], v0 offset:384
	s_waitcnt vmcnt(4) lgkmcnt(1)
	v_mul_f64 v[49:50], v[21:22], v[11:12]
	v_mul_f64 v[11:12], v[19:20], v[11:12]
	v_fma_f64 v[19:20], v[19:20], v[9:10], v[49:50]
	v_fma_f64 v[21:22], v[21:22], v[9:10], -v[11:12]
	s_waitcnt vmcnt(3) lgkmcnt(0)
	v_mul_f64 v[49:50], v[7:8], v[17:18]
	v_mul_f64 v[17:18], v[5:6], v[17:18]
	ds_read_b128 v[9:12], v0 offset:640
	s_waitcnt vmcnt(2) lgkmcnt(0)
	v_mul_f64 v[51:52], v[11:12], v[25:26]
	v_mul_f64 v[25:26], v[9:10], v[25:26]
	v_fma_f64 v[49:50], v[5:6], v[15:16], v[49:50]
	v_fma_f64 v[16:17], v[7:8], v[15:16], -v[17:18]
	ds_read_b128 v[5:8], v0 offset:768
	v_lshl_add_u32 v15, v34, 4, v14
	v_fma_f64 v[51:52], v[9:10], v[23:24], v[51:52]
	v_fma_f64 v[23:24], v[11:12], v[23:24], -v[25:26]
	ds_read_b128 v[9:12], v0 offset:512
	s_waitcnt vmcnt(1) lgkmcnt(1)
	v_mul_f64 v[25:26], v[7:8], v[29:30]
	v_mul_f64 v[29:30], v[5:6], v[29:30]
	v_add_f64 v[55:56], v[21:22], v[23:24]
	v_fma_f64 v[25:26], v[5:6], v[27:28], v[25:26]
	s_waitcnt vmcnt(0) lgkmcnt(0)
	v_mul_f64 v[5:6], v[11:12], v[45:46]
	v_fma_f64 v[27:28], v[7:8], v[27:28], -v[29:30]
	v_mul_f64 v[7:8], v[9:10], v[45:46]
	v_add_f64 v[45:46], v[19:20], v[51:52]
	v_add_f64 v[18:19], v[19:20], -v[51:52]
	v_add_f64 v[20:21], v[21:22], -v[23:24]
	v_add_f64 v[29:30], v[31:32], v[25:26]
	v_fma_f64 v[9:10], v[9:10], v[43:44], v[5:6]
	v_add_f64 v[53:54], v[47:48], v[27:28]
	v_fma_f64 v[11:12], v[11:12], v[43:44], -v[7:8]
	v_add_f64 v[25:26], v[31:32], -v[25:26]
	v_add_f64 v[27:28], v[47:48], -v[27:28]
	v_add_f64 v[5:6], v[45:46], v[29:30]
	v_add_f64 v[43:44], v[49:50], v[9:10]
	v_add_f64 v[9:10], v[9:10], -v[49:50]
	v_add_f64 v[59:60], v[16:17], v[11:12]
	v_add_f64 v[11:12], v[11:12], -v[16:17]
	v_add_f64 v[16:17], v[45:46], -v[29:30]
	;; [unrolled: 1-line block ×4, first 2 shown]
	v_add_f64 v[47:48], v[9:10], v[18:19]
	v_add_f64 v[29:30], v[43:44], -v[45:46]
	v_add_f64 v[45:46], v[59:60], -v[55:56]
	;; [unrolled: 1-line block ×5, first 2 shown]
	v_add_f64 v[57:58], v[43:44], v[5:6]
	v_add_f64 v[5:6], v[55:56], v[53:54]
	;; [unrolled: 1-line block ×4, first 2 shown]
	v_add_f64 v[43:44], v[53:54], -v[59:60]
	v_add_f64 v[51:52], v[11:12], -v[20:21]
	v_add_f64 v[11:12], v[27:28], -v[11:12]
	v_add_f64 v[20:21], v[20:21], -v[27:28]
	v_mul_f64 v[53:54], v[45:46], s[6:7]
	v_mul_f64 v[22:23], v[22:23], s[0:1]
	v_add_f64 v[61:62], v[59:60], v[5:6]
	v_add_f64 v[26:27], v[47:48], v[27:28]
	v_mul_f64 v[47:48], v[29:30], s[6:7]
	ds_read_b128 v[5:8], v15
	s_waitcnt lgkmcnt(0)
	s_barrier
	v_fma_f64 v[53:54], v[31:32], s[16:17], -v[53:54]
	v_fma_f64 v[28:29], v[29:30], s[6:7], v[22:23]
	v_add_f64 v[5:6], v[5:6], v[57:58]
	v_add_f64 v[7:8], v[7:8], v[61:62]
	v_fma_f64 v[47:48], v[16:17], s[16:17], -v[47:48]
	s_mov_b32 s17, 0xbfe77f67
	v_fma_f64 v[16:17], v[16:17], s[16:17], -v[22:23]
	v_mul_f64 v[22:23], v[43:44], s[0:1]
	s_mov_b32 s0, 0xe976ee23
	s_mov_b32 s1, 0x3fe11646
	v_fma_f64 v[43:44], v[45:46], s[6:7], v[22:23]
	v_fma_f64 v[22:23], v[31:32], s[16:17], -v[22:23]
	v_mul_f64 v[30:31], v[49:50], s[0:1]
	v_mul_f64 v[45:46], v[51:52], s[0:1]
	s_mov_b32 s6, 0x429ad128
	s_mov_b32 s7, 0xbfebfeb5
	v_mul_f64 v[49:50], v[18:19], s[6:7]
	s_mov_b32 s17, 0xbfd5d0dc
	s_mov_b32 s16, 0xb247c609
	;; [unrolled: 1-line block ×3, first 2 shown]
	v_fma_f64 v[18:19], v[18:19], s[6:7], -v[30:31]
	v_fma_f64 v[30:31], v[9:10], s[16:17], v[30:31]
	v_fma_f64 v[51:52], v[11:12], s[16:17], v[45:46]
	v_fma_f64 v[45:46], v[20:21], s[6:7], -v[45:46]
	v_mul_f64 v[20:21], v[20:21], s[6:7]
	s_mov_b32 s17, 0x3fd5d0dc
	v_fma_f64 v[9:10], v[9:10], s[16:17], -v[49:50]
	s_mov_b32 s6, 0xaaaaaaaa
	s_mov_b32 s1, 0xbfdc38aa
	;; [unrolled: 1-line block ×3, first 2 shown]
	v_fma_f64 v[49:50], v[24:25], s[0:1], v[30:31]
	v_fma_f64 v[30:31], v[24:25], s[0:1], v[18:19]
	v_fma_f64 v[11:12], v[11:12], s[16:17], -v[20:21]
	v_fma_f64 v[18:19], v[57:58], s[6:7], v[5:6]
	v_fma_f64 v[20:21], v[61:62], s[6:7], v[7:8]
	;; [unrolled: 1-line block ×3, first 2 shown]
	v_lshrrev_b32_e32 v24, 2, v34
	v_mul_u32_u24_e32 v24, 28, v24
	v_or_b32_e32 v32, v24, v35
	v_fma_f64 v[24:25], v[26:27], s[0:1], v[45:46]
	v_fma_f64 v[51:52], v[26:27], s[0:1], v[51:52]
	v_add_f64 v[45:46], v[47:48], v[18:19]
	v_add_f64 v[57:58], v[28:29], v[18:19]
	;; [unrolled: 1-line block ×4, first 2 shown]
	v_fma_f64 v[11:12], v[26:27], s[0:1], v[11:12]
	v_add_f64 v[53:54], v[16:17], v[18:19]
	v_add_f64 v[55:56], v[22:23], v[20:21]
	v_lshl_add_u32 v14, v32, 4, v14
	v_add_f64 v[16:17], v[45:46], -v[24:25]
	v_add_f64 v[20:21], v[24:25], v[45:46]
	v_add_f64 v[43:44], v[51:52], v[57:58]
	v_add_f64 v[45:46], v[59:60], -v[49:50]
	v_add_f64 v[18:19], v[30:31], v[47:48]
	v_add_f64 v[24:25], v[11:12], v[53:54]
	v_add_f64 v[26:27], v[55:56], -v[9:10]
	v_add_f64 v[22:23], v[47:48], -v[30:31]
	;; [unrolled: 1-line block ×3, first 2 shown]
	v_add_f64 v[30:31], v[9:10], v[55:56]
	v_add_f64 v[9:10], v[57:58], -v[51:52]
	v_add_f64 v[11:12], v[49:50], v[59:60]
	ds_write_b128 v14, v[5:8]
	ds_write_b128 v14, v[43:46] offset:64
	ds_write_b128 v14, v[24:27] offset:128
	;; [unrolled: 1-line block ×6, first 2 shown]
	s_waitcnt lgkmcnt(0)
	s_barrier
	ds_read_b128 v[17:20], v15
	ds_read_b128 v[5:8], v13
	ds_read_b128 v[29:32], v0 offset:448
	ds_read_b128 v[13:16], v0 offset:256
	;; [unrolled: 1-line block ×4, first 2 shown]
	v_cmp_gt_u32_e64 s[0:1], 4, v34
	s_and_saveexec_b64 s[6:7], s[0:1]
	s_cbranch_execz .LBB0_14
; %bb.13:
	ds_read_b128 v[9:12], v0 offset:384
	ds_read_b128 v[1:4], v0 offset:832
.LBB0_14:
	s_or_b64 exec, exec, s[6:7]
	s_and_saveexec_b64 s[0:1], vcc
	s_cbranch_execz .LBB0_17
; %bb.15:
	v_mov_b32_e32 v35, 0
	v_lshlrev_b64 v[43:44], 4, v[34:35]
	v_mov_b32_e32 v0, s3
	v_add_co_u32_e32 v47, vcc, s2, v43
	v_addc_co_u32_e32 v48, vcc, v0, v44, vcc
	global_load_dwordx4 v[43:46], v[47:48], off offset:384
	v_mov_b32_e32 v37, v35
	v_lshlrev_b64 v[36:37], 4, v[36:37]
	s_load_dwordx2 s[0:1], s[4:5], 0x58
	v_add_co_u32_e32 v36, vcc, s2, v36
	v_addc_co_u32_e32 v37, vcc, v0, v37, vcc
	global_load_dwordx4 v[51:54], v[36:37], off offset:384
	v_mul_lo_u32 v0, s13, v41
	global_load_dwordx4 v[47:50], v[47:48], off offset:640
	v_mul_lo_u32 v55, s12, v42
	v_mad_u64_u32 v[36:37], s[4:5], s12, v41, 0
	v_mad_u64_u32 v[41:42], s[4:5], s14, v33, 0
	v_mul_lo_u32 v56, s11, v39
	v_mul_lo_u32 v57, s10, v40
	v_mad_u64_u32 v[39:40], s[4:5], s10, v39, 0
	v_add_u32_e32 v59, 8, v38
	v_lshrrev_b32_e32 v58, 2, v38
	s_mov_b32 s6, 0x24924925
	v_lshrrev_b32_e32 v60, 2, v59
	v_mul_hi_u32 v58, v58, s6
	v_mul_hi_u32 v60, v60, s6
	v_add3_u32 v37, v37, v55, v0
	v_mov_b32_e32 v0, v42
	v_add3_u32 v40, v40, v57, v56
	s_waitcnt lgkmcnt(0)
	v_mad_u64_u32 v[55:56], s[4:5], s15, v33, v[0:1]
	v_mul_lo_u32 v0, v58, 28
	v_mul_lo_u32 v57, v60, 28
	v_mov_b32_e32 v42, v55
	v_lshlrev_b64 v[41:42], 4, v[41:42]
	v_sub_u32_e32 v61, v38, v0
	v_sub_u32_e32 v0, v59, v57
	v_mov_b32_e32 v33, s1
	v_lshlrev_b64 v[36:37], 4, v[36:37]
	v_mad_u64_u32 v[55:56], s[4:5], s8, v61, 0
	v_mad_u64_u32 v[59:60], s[4:5], v60, 56, v[0:1]
	v_add_co_u32_e32 v0, vcc, s0, v41
	v_addc_co_u32_e32 v33, vcc, v33, v42, vcc
	v_lshlrev_b64 v[39:40], 4, v[39:40]
	v_add_co_u32_e32 v0, vcc, v0, v36
	v_addc_co_u32_e32 v33, vcc, v33, v37, vcc
	v_mov_b32_e32 v36, v56
	v_add_co_u32_e32 v0, vcc, v0, v39
	v_addc_co_u32_e32 v33, vcc, v33, v40, vcc
	v_mad_u64_u32 v[36:37], s[0:1], s9, v61, v[36:37]
	v_mad_u64_u32 v[39:40], s[0:1], s8, v59, 0
	v_mov_b32_e32 v56, v36
	v_add_u32_e32 v62, 28, v61
	v_mov_b32_e32 v36, v40
	v_mad_u64_u32 v[57:58], s[4:5], s8, v62, 0
	v_lshlrev_b64 v[55:56], 4, v[55:56]
	v_mov_b32_e32 v37, v58
	v_mad_u64_u32 v[60:61], s[0:1], s9, v62, v[37:38]
	v_mad_u64_u32 v[36:37], s[0:1], s9, v59, v[36:37]
	v_mov_b32_e32 v58, v60
	s_waitcnt vmcnt(2)
	v_mul_f64 v[41:42], v[29:30], v[45:46]
	v_mul_f64 v[45:46], v[31:32], v[45:46]
	v_fma_f64 v[31:32], v[31:32], v[43:44], -v[41:42]
	v_fma_f64 v[29:30], v[29:30], v[43:44], v[45:46]
	s_waitcnt vmcnt(0)
	v_mul_f64 v[40:41], v[27:28], v[49:50]
	v_mul_f64 v[42:43], v[21:22], v[53:54]
	;; [unrolled: 1-line block ×4, first 2 shown]
	v_lshlrev_b64 v[49:50], 4, v[57:58]
	v_fma_f64 v[25:26], v[25:26], v[47:48], v[40:41]
	v_fma_f64 v[40:41], v[23:24], v[51:52], -v[42:43]
	v_fma_f64 v[42:43], v[21:22], v[51:52], v[44:45]
	v_add_f64 v[23:24], v[19:20], -v[31:32]
	v_add_f64 v[21:22], v[17:18], -v[29:30]
	v_add_co_u32_e32 v44, vcc, v0, v55
	v_addc_co_u32_e32 v45, vcc, v33, v56, vcc
	v_add_f64 v[31:32], v[7:8], -v[40:41]
	v_add_f64 v[29:30], v[5:6], -v[42:43]
	v_fma_f64 v[19:20], v[19:20], 2.0, -v[23:24]
	v_fma_f64 v[17:18], v[17:18], 2.0, -v[21:22]
	v_add_co_u32_e32 v41, vcc, v0, v49
	v_addc_co_u32_e32 v42, vcc, v33, v50, vcc
	v_fma_f64 v[7:8], v[7:8], 2.0, -v[31:32]
	v_fma_f64 v[5:6], v[5:6], 2.0, -v[29:30]
	global_store_dwordx4 v[44:45], v[17:20], off
	global_store_dwordx4 v[41:42], v[21:24], off
	s_nop 0
	v_add_u32_e32 v22, 16, v38
	v_mov_b32_e32 v40, v36
	v_lshrrev_b32_e32 v19, 2, v22
	v_lshlrev_b64 v[36:37], 4, v[39:40]
	v_mul_hi_u32 v23, v19, s6
	v_add_u32_e32 v21, 28, v59
	v_mad_u64_u32 v[17:18], s[0:1], s8, v21, 0
	v_add_co_u32_e32 v19, vcc, v0, v36
	v_addc_co_u32_e32 v20, vcc, v33, v37, vcc
	v_fma_f64 v[27:28], v[27:28], v[47:48], -v[61:62]
	global_store_dwordx4 v[19:20], v[5:8], off
	v_add_f64 v[25:26], v[13:14], -v[25:26]
	v_mul_lo_u32 v7, v23, 28
	v_mov_b32_e32 v5, v18
	v_mad_u64_u32 v[5:6], s[0:1], s9, v21, v[5:6]
	v_sub_u32_e32 v6, v22, v7
	v_mad_u64_u32 v[6:7], s[0:1], v23, 56, v[6:7]
	v_add_f64 v[27:28], v[15:16], -v[27:28]
	v_mov_b32_e32 v18, v5
	v_lshlrev_b64 v[7:8], 4, v[17:18]
	v_mad_u64_u32 v[17:18], s[0:1], s8, v6, 0
	v_fma_f64 v[13:14], v[13:14], 2.0, -v[25:26]
	v_add_co_u32_e32 v7, vcc, v0, v7
	v_mov_b32_e32 v5, v18
	v_mad_u64_u32 v[18:19], s[0:1], s9, v6, v[5:6]
	v_add_u32_e32 v19, 28, v6
	v_fma_f64 v[15:16], v[15:16], 2.0, -v[27:28]
	v_mad_u64_u32 v[5:6], s[0:1], s8, v19, 0
	v_addc_co_u32_e32 v8, vcc, v33, v8, vcc
	global_store_dwordx4 v[7:8], v[29:32], off
	v_lshlrev_b64 v[7:8], 4, v[17:18]
	v_mad_u64_u32 v[17:18], s[0:1], s9, v19, v[6:7]
	v_add_co_u32_e32 v6, vcc, v0, v7
	v_addc_co_u32_e32 v7, vcc, v33, v8, vcc
	global_store_dwordx4 v[6:7], v[13:16], off
	v_mov_b32_e32 v6, v17
	v_lshlrev_b64 v[5:6], 4, v[5:6]
	v_add_co_u32_e32 v5, vcc, v0, v5
	v_addc_co_u32_e32 v6, vcc, v33, v6, vcc
	global_store_dwordx4 v[5:6], v[25:28], off
	v_add_u32_e32 v5, 24, v38
	v_cmp_gt_u32_e32 vcc, 28, v5
	s_and_b64 exec, exec, vcc
	s_cbranch_execz .LBB0_17
; %bb.16:
	v_or_b32_e32 v6, 24, v34
	v_add_u32_e32 v7, -4, v34
	v_cmp_gt_u32_e32 vcc, 28, v6
	v_cndmask_b32_e32 v34, v7, v6, vcc
	v_lshlrev_b64 v[6:7], 4, v[34:35]
	v_mov_b32_e32 v8, s3
	v_add_co_u32_e32 v6, vcc, s2, v6
	v_addc_co_u32_e32 v7, vcc, v8, v7, vcc
	global_load_dwordx4 v[13:16], v[6:7], off offset:384
	v_mad_u64_u32 v[17:18], s[0:1], s8, v5, 0
	v_add_u32_e32 v19, 52, v38
	v_mov_b32_e32 v8, v18
	s_waitcnt vmcnt(0)
	v_mul_f64 v[6:7], v[3:4], v[15:16]
	v_mul_f64 v[15:16], v[1:2], v[15:16]
	v_fma_f64 v[1:2], v[1:2], v[13:14], v[6:7]
	v_fma_f64 v[3:4], v[3:4], v[13:14], -v[15:16]
	v_mad_u64_u32 v[6:7], s[0:1], s8, v19, 0
	v_mad_u64_u32 v[13:14], s[0:1], s9, v5, v[8:9]
	v_mov_b32_e32 v5, v7
	v_mad_u64_u32 v[7:8], s[0:1], s9, v19, v[5:6]
	v_add_f64 v[1:2], v[9:10], -v[1:2]
	v_add_f64 v[3:4], v[11:12], -v[3:4]
	v_lshlrev_b64 v[15:16], 4, v[6:7]
	v_mov_b32_e32 v18, v13
	v_lshlrev_b64 v[13:14], 4, v[17:18]
	v_fma_f64 v[5:6], v[9:10], 2.0, -v[1:2]
	v_fma_f64 v[7:8], v[11:12], 2.0, -v[3:4]
	v_add_co_u32_e32 v9, vcc, v0, v13
	v_addc_co_u32_e32 v10, vcc, v33, v14, vcc
	v_add_co_u32_e32 v11, vcc, v0, v15
	v_addc_co_u32_e32 v12, vcc, v33, v16, vcc
	global_store_dwordx4 v[9:10], v[5:8], off
	global_store_dwordx4 v[11:12], v[1:4], off
.LBB0_17:
	s_endpgm
	.section	.rodata,"a",@progbits
	.p2align	6, 0x0
	.amdhsa_kernel fft_rtc_back_len56_factors_4_7_2_wgs_128_tpt_8_dim3_dp_op_CI_CI_sbrr_dirReg
		.amdhsa_group_segment_fixed_size 0
		.amdhsa_private_segment_fixed_size 0
		.amdhsa_kernarg_size 96
		.amdhsa_user_sgpr_count 6
		.amdhsa_user_sgpr_private_segment_buffer 1
		.amdhsa_user_sgpr_dispatch_ptr 0
		.amdhsa_user_sgpr_queue_ptr 0
		.amdhsa_user_sgpr_kernarg_segment_ptr 1
		.amdhsa_user_sgpr_dispatch_id 0
		.amdhsa_user_sgpr_flat_scratch_init 0
		.amdhsa_user_sgpr_private_segment_size 0
		.amdhsa_uses_dynamic_stack 0
		.amdhsa_system_sgpr_private_segment_wavefront_offset 0
		.amdhsa_system_sgpr_workgroup_id_x 1
		.amdhsa_system_sgpr_workgroup_id_y 0
		.amdhsa_system_sgpr_workgroup_id_z 0
		.amdhsa_system_sgpr_workgroup_info 0
		.amdhsa_system_vgpr_workitem_id 0
		.amdhsa_next_free_vgpr 63
		.amdhsa_next_free_sgpr 26
		.amdhsa_reserve_vcc 1
		.amdhsa_reserve_flat_scratch 0
		.amdhsa_float_round_mode_32 0
		.amdhsa_float_round_mode_16_64 0
		.amdhsa_float_denorm_mode_32 3
		.amdhsa_float_denorm_mode_16_64 3
		.amdhsa_dx10_clamp 1
		.amdhsa_ieee_mode 1
		.amdhsa_fp16_overflow 0
		.amdhsa_exception_fp_ieee_invalid_op 0
		.amdhsa_exception_fp_denorm_src 0
		.amdhsa_exception_fp_ieee_div_zero 0
		.amdhsa_exception_fp_ieee_overflow 0
		.amdhsa_exception_fp_ieee_underflow 0
		.amdhsa_exception_fp_ieee_inexact 0
		.amdhsa_exception_int_div_zero 0
	.end_amdhsa_kernel
	.text
.Lfunc_end0:
	.size	fft_rtc_back_len56_factors_4_7_2_wgs_128_tpt_8_dim3_dp_op_CI_CI_sbrr_dirReg, .Lfunc_end0-fft_rtc_back_len56_factors_4_7_2_wgs_128_tpt_8_dim3_dp_op_CI_CI_sbrr_dirReg
                                        ; -- End function
	.section	.AMDGPU.csdata,"",@progbits
; Kernel info:
; codeLenInByte = 3912
; NumSgprs: 30
; NumVgprs: 63
; ScratchSize: 0
; MemoryBound: 1
; FloatMode: 240
; IeeeMode: 1
; LDSByteSize: 0 bytes/workgroup (compile time only)
; SGPRBlocks: 3
; VGPRBlocks: 15
; NumSGPRsForWavesPerEU: 30
; NumVGPRsForWavesPerEU: 63
; Occupancy: 4
; WaveLimiterHint : 1
; COMPUTE_PGM_RSRC2:SCRATCH_EN: 0
; COMPUTE_PGM_RSRC2:USER_SGPR: 6
; COMPUTE_PGM_RSRC2:TRAP_HANDLER: 0
; COMPUTE_PGM_RSRC2:TGID_X_EN: 1
; COMPUTE_PGM_RSRC2:TGID_Y_EN: 0
; COMPUTE_PGM_RSRC2:TGID_Z_EN: 0
; COMPUTE_PGM_RSRC2:TIDIG_COMP_CNT: 0
	.type	__hip_cuid_62bf6bce43ba54e9,@object ; @__hip_cuid_62bf6bce43ba54e9
	.section	.bss,"aw",@nobits
	.globl	__hip_cuid_62bf6bce43ba54e9
__hip_cuid_62bf6bce43ba54e9:
	.byte	0                               ; 0x0
	.size	__hip_cuid_62bf6bce43ba54e9, 1

	.ident	"AMD clang version 19.0.0git (https://github.com/RadeonOpenCompute/llvm-project roc-6.4.0 25133 c7fe45cf4b819c5991fe208aaa96edf142730f1d)"
	.section	".note.GNU-stack","",@progbits
	.addrsig
	.addrsig_sym __hip_cuid_62bf6bce43ba54e9
	.amdgpu_metadata
---
amdhsa.kernels:
  - .args:
      - .actual_access:  read_only
        .address_space:  global
        .offset:         0
        .size:           8
        .value_kind:     global_buffer
      - .actual_access:  read_only
        .address_space:  global
        .offset:         8
        .size:           8
        .value_kind:     global_buffer
      - .actual_access:  read_only
        .address_space:  global
        .offset:         16
        .size:           8
        .value_kind:     global_buffer
      - .actual_access:  read_only
        .address_space:  global
        .offset:         24
        .size:           8
        .value_kind:     global_buffer
      - .offset:         32
        .size:           8
        .value_kind:     by_value
      - .actual_access:  read_only
        .address_space:  global
        .offset:         40
        .size:           8
        .value_kind:     global_buffer
      - .actual_access:  read_only
        .address_space:  global
        .offset:         48
        .size:           8
        .value_kind:     global_buffer
      - .offset:         56
        .size:           4
        .value_kind:     by_value
      - .actual_access:  read_only
        .address_space:  global
        .offset:         64
        .size:           8
        .value_kind:     global_buffer
      - .actual_access:  read_only
        .address_space:  global
        .offset:         72
        .size:           8
        .value_kind:     global_buffer
      - .actual_access:  read_only
        .address_space:  global
        .offset:         80
        .size:           8
        .value_kind:     global_buffer
      - .actual_access:  write_only
        .address_space:  global
        .offset:         88
        .size:           8
        .value_kind:     global_buffer
    .group_segment_fixed_size: 0
    .kernarg_segment_align: 8
    .kernarg_segment_size: 96
    .language:       OpenCL C
    .language_version:
      - 2
      - 0
    .max_flat_workgroup_size: 128
    .name:           fft_rtc_back_len56_factors_4_7_2_wgs_128_tpt_8_dim3_dp_op_CI_CI_sbrr_dirReg
    .private_segment_fixed_size: 0
    .sgpr_count:     30
    .sgpr_spill_count: 0
    .symbol:         fft_rtc_back_len56_factors_4_7_2_wgs_128_tpt_8_dim3_dp_op_CI_CI_sbrr_dirReg.kd
    .uniform_work_group_size: 1
    .uses_dynamic_stack: false
    .vgpr_count:     63
    .vgpr_spill_count: 0
    .wavefront_size: 64
amdhsa.target:   amdgcn-amd-amdhsa--gfx906
amdhsa.version:
  - 1
  - 2
...

	.end_amdgpu_metadata
